;; amdgpu-corpus repo=ROCm/rocFFT kind=compiled arch=gfx906 opt=O3
	.text
	.amdgcn_target "amdgcn-amd-amdhsa--gfx906"
	.amdhsa_code_object_version 6
	.protected	fft_rtc_fwd_len1620_factors_10_3_3_6_3_wgs_162_tpt_162_halfLds_sp_ip_CI_sbrr_dirReg ; -- Begin function fft_rtc_fwd_len1620_factors_10_3_3_6_3_wgs_162_tpt_162_halfLds_sp_ip_CI_sbrr_dirReg
	.globl	fft_rtc_fwd_len1620_factors_10_3_3_6_3_wgs_162_tpt_162_halfLds_sp_ip_CI_sbrr_dirReg
	.p2align	8
	.type	fft_rtc_fwd_len1620_factors_10_3_3_6_3_wgs_162_tpt_162_halfLds_sp_ip_CI_sbrr_dirReg,@function
fft_rtc_fwd_len1620_factors_10_3_3_6_3_wgs_162_tpt_162_halfLds_sp_ip_CI_sbrr_dirReg: ; @fft_rtc_fwd_len1620_factors_10_3_3_6_3_wgs_162_tpt_162_halfLds_sp_ip_CI_sbrr_dirReg
; %bb.0:
	s_load_dwordx2 s[2:3], s[4:5], 0x18
	s_load_dwordx4 s[8:11], s[4:5], 0x0
	s_load_dwordx2 s[14:15], s[4:5], 0x50
	v_mul_u32_u24_e32 v1, 0x195, v0
	v_add_u32_sdwa v5, s6, v1 dst_sel:DWORD dst_unused:UNUSED_PAD src0_sel:DWORD src1_sel:WORD_1
	s_waitcnt lgkmcnt(0)
	s_load_dwordx2 s[12:13], s[2:3], 0x0
	v_cmp_lt_u64_e64 s[0:1], s[10:11], 2
	v_mov_b32_e32 v3, 0
	v_mov_b32_e32 v1, 0
	;; [unrolled: 1-line block ×3, first 2 shown]
	s_and_b64 vcc, exec, s[0:1]
	v_mov_b32_e32 v2, 0
	s_cbranch_vccnz .LBB0_8
; %bb.1:
	s_load_dwordx2 s[0:1], s[4:5], 0x10
	s_add_u32 s6, s2, 8
	s_addc_u32 s7, s3, 0
	v_mov_b32_e32 v1, 0
	v_mov_b32_e32 v2, 0
	s_waitcnt lgkmcnt(0)
	s_add_u32 s16, s0, 8
	s_addc_u32 s17, s1, 0
	s_mov_b64 s[18:19], 1
.LBB0_2:                                ; =>This Inner Loop Header: Depth=1
	s_load_dwordx2 s[20:21], s[16:17], 0x0
                                        ; implicit-def: $vgpr7_vgpr8
	s_waitcnt lgkmcnt(0)
	v_or_b32_e32 v4, s21, v6
	v_cmp_ne_u64_e32 vcc, 0, v[3:4]
	s_and_saveexec_b64 s[0:1], vcc
	s_xor_b64 s[22:23], exec, s[0:1]
	s_cbranch_execz .LBB0_4
; %bb.3:                                ;   in Loop: Header=BB0_2 Depth=1
	v_cvt_f32_u32_e32 v4, s20
	v_cvt_f32_u32_e32 v7, s21
	s_sub_u32 s0, 0, s20
	s_subb_u32 s1, 0, s21
	v_mac_f32_e32 v4, 0x4f800000, v7
	v_rcp_f32_e32 v4, v4
	v_mul_f32_e32 v4, 0x5f7ffffc, v4
	v_mul_f32_e32 v7, 0x2f800000, v4
	v_trunc_f32_e32 v7, v7
	v_mac_f32_e32 v4, 0xcf800000, v7
	v_cvt_u32_f32_e32 v7, v7
	v_cvt_u32_f32_e32 v4, v4
	v_mul_lo_u32 v8, s0, v7
	v_mul_hi_u32 v9, s0, v4
	v_mul_lo_u32 v11, s1, v4
	v_mul_lo_u32 v10, s0, v4
	v_add_u32_e32 v8, v9, v8
	v_add_u32_e32 v8, v8, v11
	v_mul_hi_u32 v9, v4, v10
	v_mul_lo_u32 v11, v4, v8
	v_mul_hi_u32 v13, v4, v8
	v_mul_hi_u32 v12, v7, v10
	v_mul_lo_u32 v10, v7, v10
	v_mul_hi_u32 v14, v7, v8
	v_add_co_u32_e32 v9, vcc, v9, v11
	v_addc_co_u32_e32 v11, vcc, 0, v13, vcc
	v_mul_lo_u32 v8, v7, v8
	v_add_co_u32_e32 v9, vcc, v9, v10
	v_addc_co_u32_e32 v9, vcc, v11, v12, vcc
	v_addc_co_u32_e32 v10, vcc, 0, v14, vcc
	v_add_co_u32_e32 v8, vcc, v9, v8
	v_addc_co_u32_e32 v9, vcc, 0, v10, vcc
	v_add_co_u32_e32 v4, vcc, v4, v8
	v_addc_co_u32_e32 v7, vcc, v7, v9, vcc
	v_mul_lo_u32 v8, s0, v7
	v_mul_hi_u32 v9, s0, v4
	v_mul_lo_u32 v10, s1, v4
	v_mul_lo_u32 v11, s0, v4
	v_add_u32_e32 v8, v9, v8
	v_add_u32_e32 v8, v8, v10
	v_mul_lo_u32 v12, v4, v8
	v_mul_hi_u32 v13, v4, v11
	v_mul_hi_u32 v14, v4, v8
	;; [unrolled: 1-line block ×3, first 2 shown]
	v_mul_lo_u32 v11, v7, v11
	v_mul_hi_u32 v9, v7, v8
	v_add_co_u32_e32 v12, vcc, v13, v12
	v_addc_co_u32_e32 v13, vcc, 0, v14, vcc
	v_mul_lo_u32 v8, v7, v8
	v_add_co_u32_e32 v11, vcc, v12, v11
	v_addc_co_u32_e32 v10, vcc, v13, v10, vcc
	v_addc_co_u32_e32 v9, vcc, 0, v9, vcc
	v_add_co_u32_e32 v8, vcc, v10, v8
	v_addc_co_u32_e32 v9, vcc, 0, v9, vcc
	v_add_co_u32_e32 v4, vcc, v4, v8
	v_addc_co_u32_e32 v9, vcc, v7, v9, vcc
	v_mad_u64_u32 v[7:8], s[0:1], v5, v9, 0
	v_mul_hi_u32 v10, v5, v4
	v_add_co_u32_e32 v11, vcc, v10, v7
	v_addc_co_u32_e32 v12, vcc, 0, v8, vcc
	v_mad_u64_u32 v[7:8], s[0:1], v6, v4, 0
	v_mad_u64_u32 v[9:10], s[0:1], v6, v9, 0
	v_add_co_u32_e32 v4, vcc, v11, v7
	v_addc_co_u32_e32 v4, vcc, v12, v8, vcc
	v_addc_co_u32_e32 v7, vcc, 0, v10, vcc
	v_add_co_u32_e32 v4, vcc, v4, v9
	v_addc_co_u32_e32 v9, vcc, 0, v7, vcc
	v_mul_lo_u32 v10, s21, v4
	v_mul_lo_u32 v11, s20, v9
	v_mad_u64_u32 v[7:8], s[0:1], s20, v4, 0
	v_add3_u32 v8, v8, v11, v10
	v_sub_u32_e32 v10, v6, v8
	v_mov_b32_e32 v11, s21
	v_sub_co_u32_e32 v7, vcc, v5, v7
	v_subb_co_u32_e64 v10, s[0:1], v10, v11, vcc
	v_subrev_co_u32_e64 v11, s[0:1], s20, v7
	v_subbrev_co_u32_e64 v10, s[0:1], 0, v10, s[0:1]
	v_cmp_le_u32_e64 s[0:1], s21, v10
	v_cndmask_b32_e64 v12, 0, -1, s[0:1]
	v_cmp_le_u32_e64 s[0:1], s20, v11
	v_cndmask_b32_e64 v11, 0, -1, s[0:1]
	v_cmp_eq_u32_e64 s[0:1], s21, v10
	v_cndmask_b32_e64 v10, v12, v11, s[0:1]
	v_add_co_u32_e64 v11, s[0:1], 2, v4
	v_addc_co_u32_e64 v12, s[0:1], 0, v9, s[0:1]
	v_add_co_u32_e64 v13, s[0:1], 1, v4
	v_addc_co_u32_e64 v14, s[0:1], 0, v9, s[0:1]
	v_subb_co_u32_e32 v8, vcc, v6, v8, vcc
	v_cmp_ne_u32_e64 s[0:1], 0, v10
	v_cmp_le_u32_e32 vcc, s21, v8
	v_cndmask_b32_e64 v10, v14, v12, s[0:1]
	v_cndmask_b32_e64 v12, 0, -1, vcc
	v_cmp_le_u32_e32 vcc, s20, v7
	v_cndmask_b32_e64 v7, 0, -1, vcc
	v_cmp_eq_u32_e32 vcc, s21, v8
	v_cndmask_b32_e32 v7, v12, v7, vcc
	v_cmp_ne_u32_e32 vcc, 0, v7
	v_cndmask_b32_e64 v7, v13, v11, s[0:1]
	v_cndmask_b32_e32 v8, v9, v10, vcc
	v_cndmask_b32_e32 v7, v4, v7, vcc
.LBB0_4:                                ;   in Loop: Header=BB0_2 Depth=1
	s_andn2_saveexec_b64 s[0:1], s[22:23]
	s_cbranch_execz .LBB0_6
; %bb.5:                                ;   in Loop: Header=BB0_2 Depth=1
	v_cvt_f32_u32_e32 v4, s20
	s_sub_i32 s22, 0, s20
	v_rcp_iflag_f32_e32 v4, v4
	v_mul_f32_e32 v4, 0x4f7ffffe, v4
	v_cvt_u32_f32_e32 v4, v4
	v_mul_lo_u32 v7, s22, v4
	v_mul_hi_u32 v7, v4, v7
	v_add_u32_e32 v4, v4, v7
	v_mul_hi_u32 v4, v5, v4
	v_mul_lo_u32 v7, v4, s20
	v_add_u32_e32 v8, 1, v4
	v_sub_u32_e32 v7, v5, v7
	v_subrev_u32_e32 v9, s20, v7
	v_cmp_le_u32_e32 vcc, s20, v7
	v_cndmask_b32_e32 v7, v7, v9, vcc
	v_cndmask_b32_e32 v4, v4, v8, vcc
	v_add_u32_e32 v8, 1, v4
	v_cmp_le_u32_e32 vcc, s20, v7
	v_cndmask_b32_e32 v7, v4, v8, vcc
	v_mov_b32_e32 v8, v3
.LBB0_6:                                ;   in Loop: Header=BB0_2 Depth=1
	s_or_b64 exec, exec, s[0:1]
	v_mul_lo_u32 v4, v8, s20
	v_mul_lo_u32 v11, v7, s21
	v_mad_u64_u32 v[9:10], s[0:1], v7, s20, 0
	s_load_dwordx2 s[0:1], s[6:7], 0x0
	s_add_u32 s18, s18, 1
	v_add3_u32 v4, v10, v11, v4
	v_sub_co_u32_e32 v5, vcc, v5, v9
	v_subb_co_u32_e32 v4, vcc, v6, v4, vcc
	s_waitcnt lgkmcnt(0)
	v_mul_lo_u32 v4, s0, v4
	v_mul_lo_u32 v6, s1, v5
	v_mad_u64_u32 v[1:2], s[0:1], s0, v5, v[1:2]
	s_addc_u32 s19, s19, 0
	s_add_u32 s6, s6, 8
	v_add3_u32 v2, v6, v2, v4
	v_mov_b32_e32 v4, s10
	v_mov_b32_e32 v5, s11
	s_addc_u32 s7, s7, 0
	v_cmp_ge_u64_e32 vcc, s[18:19], v[4:5]
	s_add_u32 s16, s16, 8
	s_addc_u32 s17, s17, 0
	s_cbranch_vccnz .LBB0_9
; %bb.7:                                ;   in Loop: Header=BB0_2 Depth=1
	v_mov_b32_e32 v5, v7
	v_mov_b32_e32 v6, v8
	s_branch .LBB0_2
.LBB0_8:
	v_mov_b32_e32 v8, v6
	v_mov_b32_e32 v7, v5
.LBB0_9:
	s_lshl_b64 s[0:1], s[10:11], 3
	s_add_u32 s0, s2, s0
	s_addc_u32 s1, s3, s1
	s_load_dwordx2 s[2:3], s[0:1], 0x0
	s_load_dwordx2 s[6:7], s[4:5], 0x20
                                        ; implicit-def: $vgpr32
                                        ; implicit-def: $vgpr33
                                        ; implicit-def: $vgpr31
	s_waitcnt lgkmcnt(0)
	v_mad_u64_u32 v[1:2], s[0:1], s2, v7, v[1:2]
	s_mov_b32 s0, 0x1948b10
	v_mul_lo_u32 v3, s2, v8
	v_mul_lo_u32 v4, s3, v7
	v_mul_hi_u32 v5, v0, s0
	v_cmp_gt_u64_e32 vcc, s[6:7], v[7:8]
	v_cmp_le_u64_e64 s[0:1], s[6:7], v[7:8]
	v_add3_u32 v2, v4, v2, v3
	v_mul_u32_u24_e32 v3, 0xa2, v5
	v_sub_u32_e32 v30, v0, v3
	s_and_saveexec_b64 s[2:3], s[0:1]
	s_xor_b64 s[0:1], exec, s[2:3]
; %bb.10:
	v_add_u32_e32 v32, 0xa2, v30
	v_add_u32_e32 v33, 0x144, v30
	;; [unrolled: 1-line block ×3, first 2 shown]
; %bb.11:
	s_or_saveexec_b64 s[2:3], s[0:1]
	v_lshlrev_b64 v[0:1], 3, v[1:2]
                                        ; implicit-def: $vgpr13
                                        ; implicit-def: $vgpr19
                                        ; implicit-def: $vgpr9
                                        ; implicit-def: $vgpr17
                                        ; implicit-def: $vgpr11
                                        ; implicit-def: $vgpr23
                                        ; implicit-def: $vgpr15
                                        ; implicit-def: $vgpr21
                                        ; implicit-def: $vgpr7
                                        ; implicit-def: $vgpr5
	s_xor_b64 exec, exec, s[2:3]
	s_cbranch_execz .LBB0_13
; %bb.12:
	v_mad_u64_u32 v[2:3], s[0:1], s12, v30, 0
	v_add_u32_e32 v32, 0xa2, v30
	v_mov_b32_e32 v6, s15
	v_mad_u64_u32 v[3:4], s[0:1], s13, v30, v[3:4]
	v_mad_u64_u32 v[4:5], s[0:1], s12, v32, 0
	v_add_co_u32_e64 v12, s[0:1], s14, v0
	v_addc_co_u32_e64 v13, s[0:1], v6, v1, s[0:1]
	v_mad_u64_u32 v[5:6], s[0:1], s13, v32, v[5:6]
	v_add_u32_e32 v33, 0x144, v30
	v_mad_u64_u32 v[6:7], s[0:1], s12, v33, 0
	v_lshlrev_b64 v[2:3], 3, v[2:3]
	v_add_u32_e32 v31, 0x1e6, v30
	v_add_co_u32_e64 v2, s[0:1], v12, v2
	v_addc_co_u32_e64 v3, s[0:1], v13, v3, s[0:1]
	v_mad_u64_u32 v[7:8], s[0:1], s13, v33, v[7:8]
	v_mad_u64_u32 v[8:9], s[0:1], s12, v31, 0
	v_lshlrev_b64 v[4:5], 3, v[4:5]
	v_add_co_u32_e64 v24, s[0:1], v12, v4
	v_addc_co_u32_e64 v25, s[0:1], v13, v5, s[0:1]
	v_lshlrev_b64 v[4:5], 3, v[6:7]
	v_mov_b32_e32 v6, v9
	v_mad_u64_u32 v[6:7], s[0:1], s13, v31, v[6:7]
	v_add_u32_e32 v7, 0x288, v30
	v_mad_u64_u32 v[10:11], s[0:1], s12, v7, 0
	v_add_co_u32_e64 v26, s[0:1], v12, v4
	v_mov_b32_e32 v9, v6
	v_mov_b32_e32 v6, v11
	v_addc_co_u32_e64 v27, s[0:1], v13, v5, s[0:1]
	v_lshlrev_b64 v[4:5], 3, v[8:9]
	v_mad_u64_u32 v[6:7], s[0:1], s13, v7, v[6:7]
	v_add_u32_e32 v9, 0x32a, v30
	v_mad_u64_u32 v[7:8], s[0:1], s12, v9, 0
	v_add_co_u32_e64 v28, s[0:1], v12, v4
	v_mov_b32_e32 v11, v6
	v_mov_b32_e32 v6, v8
	v_addc_co_u32_e64 v29, s[0:1], v13, v5, s[0:1]
	v_lshlrev_b64 v[4:5], 3, v[10:11]
	v_mad_u64_u32 v[8:9], s[0:1], s13, v9, v[6:7]
	v_add_u32_e32 v11, 0x3cc, v30
	v_mad_u64_u32 v[9:10], s[0:1], s12, v11, 0
	v_add_co_u32_e64 v34, s[0:1], v12, v4
	v_mov_b32_e32 v6, v10
	v_addc_co_u32_e64 v35, s[0:1], v13, v5, s[0:1]
	v_lshlrev_b64 v[4:5], 3, v[7:8]
	v_mad_u64_u32 v[6:7], s[0:1], s13, v11, v[6:7]
	v_add_u32_e32 v11, 0x46e, v30
	v_mad_u64_u32 v[7:8], s[0:1], s12, v11, 0
	v_add_co_u32_e64 v36, s[0:1], v12, v4
	v_mov_b32_e32 v10, v6
	v_mov_b32_e32 v6, v8
	v_addc_co_u32_e64 v37, s[0:1], v13, v5, s[0:1]
	v_lshlrev_b64 v[4:5], 3, v[9:10]
	v_mad_u64_u32 v[8:9], s[0:1], s13, v11, v[6:7]
	v_add_u32_e32 v11, 0x510, v30
	v_mad_u64_u32 v[9:10], s[0:1], s12, v11, 0
	v_add_co_u32_e64 v38, s[0:1], v12, v4
	v_mov_b32_e32 v6, v10
	v_addc_co_u32_e64 v39, s[0:1], v13, v5, s[0:1]
	v_lshlrev_b64 v[4:5], 3, v[7:8]
	v_mad_u64_u32 v[6:7], s[0:1], s13, v11, v[6:7]
	v_add_u32_e32 v11, 0x5b2, v30
	v_mad_u64_u32 v[7:8], s[0:1], s12, v11, 0
	v_add_co_u32_e64 v40, s[0:1], v12, v4
	v_mov_b32_e32 v10, v6
	v_mov_b32_e32 v6, v8
	v_addc_co_u32_e64 v41, s[0:1], v13, v5, s[0:1]
	v_lshlrev_b64 v[4:5], 3, v[9:10]
	v_mad_u64_u32 v[8:9], s[0:1], s13, v11, v[6:7]
	v_add_co_u32_e64 v42, s[0:1], v12, v4
	v_addc_co_u32_e64 v43, s[0:1], v13, v5, s[0:1]
	v_lshlrev_b64 v[4:5], 3, v[7:8]
	v_add_co_u32_e64 v44, s[0:1], v12, v4
	v_addc_co_u32_e64 v45, s[0:1], v13, v5, s[0:1]
	global_load_dwordx2 v[4:5], v[2:3], off
	global_load_dwordx2 v[6:7], v[24:25], off
	;; [unrolled: 1-line block ×10, first 2 shown]
.LBB0_13:
	s_or_b64 exec, exec, s[2:3]
	s_waitcnt vmcnt(3)
	v_add_f32_e32 v3, v16, v22
	v_fma_f32 v26, -0.5, v3, v4
	v_sub_f32_e32 v3, v20, v22
	s_waitcnt vmcnt(1)
	v_sub_f32_e32 v24, v18, v16
	v_add_f32_e32 v27, v24, v3
	v_add_f32_e32 v3, v18, v20
	v_add_f32_e32 v2, v20, v4
	v_fmac_f32_e32 v4, -0.5, v3
	v_sub_f32_e32 v28, v23, v17
	v_mov_b32_e32 v29, v4
	v_sub_f32_e32 v3, v22, v20
	v_sub_f32_e32 v24, v16, v18
	v_fmac_f32_e32 v29, 0xbf737871, v28
	v_sub_f32_e32 v34, v21, v19
	v_fmac_f32_e32 v4, 0x3f737871, v28
	v_add_f32_e32 v3, v24, v3
	v_fmac_f32_e32 v29, 0x3f167918, v34
	v_fmac_f32_e32 v4, 0xbf167918, v34
	;; [unrolled: 1-line block ×4, first 2 shown]
	v_sub_f32_e32 v3, v14, v10
	s_waitcnt vmcnt(0)
	v_sub_f32_e32 v24, v12, v8
	v_add_f32_e32 v35, v24, v3
	v_add_f32_e32 v3, v8, v10
	;; [unrolled: 1-line block ×3, first 2 shown]
	v_fma_f32 v39, -0.5, v3, v6
	v_add_f32_e32 v3, v14, v6
	v_fmac_f32_e32 v6, -0.5, v24
	v_sub_f32_e32 v36, v11, v9
	v_mov_b32_e32 v41, v6
	v_sub_f32_e32 v24, v10, v14
	v_sub_f32_e32 v25, v8, v12
	v_fmac_f32_e32 v41, 0xbf737871, v36
	v_sub_f32_e32 v37, v15, v13
	v_fmac_f32_e32 v6, 0x3f737871, v36
	v_add_f32_e32 v2, v22, v2
	v_add_f32_e32 v24, v25, v24
	v_fmac_f32_e32 v41, 0x3f167918, v37
	v_fmac_f32_e32 v6, 0xbf167918, v37
	v_add_f32_e32 v2, v16, v2
	v_fmac_f32_e32 v41, 0x3e9e377a, v24
	v_fmac_f32_e32 v6, 0x3e9e377a, v24
	v_sub_f32_e32 v24, v15, v11
	v_sub_f32_e32 v25, v13, v9
	v_add_f32_e32 v46, v18, v2
	v_add_f32_e32 v2, v10, v3
	;; [unrolled: 1-line block ×3, first 2 shown]
	v_sub_f32_e32 v24, v11, v15
	v_sub_f32_e32 v25, v9, v13
	v_add_f32_e32 v2, v8, v2
	v_add_f32_e32 v24, v25, v24
	;; [unrolled: 1-line block ×3, first 2 shown]
	v_sub_f32_e32 v14, v14, v12
	v_add_f32_e32 v12, v12, v2
	v_add_f32_e32 v2, v9, v11
	v_fma_f32 v42, -0.5, v25, v7
	v_sub_f32_e32 v40, v10, v8
	v_mov_b32_e32 v44, v39
	v_fma_f32 v8, -0.5, v2, v7
	v_mov_b32_e32 v43, v42
	v_fmac_f32_e32 v44, 0x3f737871, v37
	v_mov_b32_e32 v45, v8
	v_fmac_f32_e32 v43, 0x3f737871, v40
	v_fmac_f32_e32 v42, 0xbf737871, v40
	v_mov_b32_e32 v47, v26
	v_fmac_f32_e32 v44, 0x3f167918, v36
	v_fmac_f32_e32 v45, 0xbf737871, v14
	v_fmac_f32_e32 v39, 0xbf737871, v37
	v_fmac_f32_e32 v43, 0xbf167918, v14
	v_fmac_f32_e32 v42, 0x3f167918, v14
	v_fmac_f32_e32 v47, 0x3f737871, v34
	v_fmac_f32_e32 v44, 0x3e9e377a, v35
	v_fmac_f32_e32 v45, 0xbf167918, v40
	v_fmac_f32_e32 v39, 0xbf167918, v36
	v_fmac_f32_e32 v8, 0x3f737871, v14
	v_fmac_f32_e32 v43, 0x3e9e377a, v24
	v_fmac_f32_e32 v42, 0x3e9e377a, v24
	s_mov_b32 s0, 0x3f737871
	v_fmac_f32_e32 v47, 0x3f167918, v28
	v_fmac_f32_e32 v45, 0x3e9e377a, v38
	v_mul_f32_e32 v48, 0x3f4f1bbd, v44
	v_mul_f32_e32 v49, 0x3e9e377a, v41
	;; [unrolled: 1-line block ×3, first 2 shown]
	v_fmac_f32_e32 v26, 0xbf737871, v34
	v_fmac_f32_e32 v39, 0x3e9e377a, v35
	;; [unrolled: 1-line block ×6, first 2 shown]
	v_fma_f32 v50, v42, s0, -v10
	v_mul_u32_u24_e32 v10, 10, v30
	v_fmac_f32_e32 v26, 0xbf167918, v28
	v_fmac_f32_e32 v8, 0x3e9e377a, v38
	s_mov_b32 s0, 0x3f167918
	v_mul_f32_e32 v14, 0x3f4f1bbd, v39
	v_add_f32_e32 v2, v12, v46
	v_add_f32_e32 v3, v47, v48
	;; [unrolled: 1-line block ×4, first 2 shown]
	v_lshl_add_u32 v10, v10, 2, 0
	v_fmac_f32_e32 v26, 0x3e9e377a, v27
	v_fma_f32 v14, v8, s0, -v14
	ds_write2_b64 v10, v[2:3], v[24:25] offset1:1
	v_sub_f32_e32 v2, v47, v48
	v_sub_f32_e32 v3, v29, v49
	;; [unrolled: 1-line block ×3, first 2 shown]
	v_add_f32_e32 v24, v26, v14
	s_movk_i32 s0, 0xffdc
	ds_write2_b64 v10, v[24:25], v[2:3] offset0:2 offset1:3
	v_sub_f32_e32 v3, v26, v14
	v_sub_f32_e32 v2, v4, v50
	v_mad_i32_i24 v34, v30, s0, v10
	ds_write_b64 v10, v[2:3] offset:32
	s_waitcnt lgkmcnt(0)
	s_barrier
	v_add_u32_e32 v46, 0x800, v34
	v_add_u32_e32 v47, 0xd00, v34
	v_lshl_add_u32 v35, v32, 2, 0
	v_add_u32_e32 v48, 0x1200, v34
	v_lshl_add_u32 v36, v33, 2, 0
	ds_read_b32 v38, v34
	ds_read_b32 v14, v35
	;; [unrolled: 1-line block ×3, first 2 shown]
	ds_read2_b32 v[28:29], v46 offset0:28 offset1:190
	ds_read2_b32 v[26:27], v47 offset0:32 offset1:248
	;; [unrolled: 1-line block ×3, first 2 shown]
	s_mov_b32 s5, 0xbf737871
	s_mov_b32 s4, 0xbf167918
	v_cmp_gt_u32_e64 s[0:1], 54, v30
	v_lshl_add_u32 v37, v31, 2, 0
                                        ; implicit-def: $vgpr2
                                        ; implicit-def: $vgpr40
	s_and_saveexec_b64 s[2:3], s[0:1]
	s_cbranch_execz .LBB0_15
; %bb.14:
	ds_read_b32 v40, v34 offset:4104
	ds_read_b32 v3, v37
	ds_read_b32 v2, v34 offset:6264
.LBB0_15:
	s_or_b64 exec, exec, s[2:3]
	v_add_f32_e32 v49, v17, v23
	v_fma_f32 v49, -0.5, v49, v5
	v_sub_f32_e32 v18, v20, v18
	v_mov_b32_e32 v20, v49
	v_fmac_f32_e32 v20, 0xbf737871, v18
	v_sub_f32_e32 v16, v22, v16
	v_sub_f32_e32 v22, v21, v23
	;; [unrolled: 1-line block ×3, first 2 shown]
	v_fmac_f32_e32 v49, 0x3f737871, v18
	v_fmac_f32_e32 v20, 0xbf167918, v16
	v_add_f32_e32 v22, v50, v22
	v_fmac_f32_e32 v49, 0x3f167918, v16
	v_fmac_f32_e32 v20, 0x3e9e377a, v22
	;; [unrolled: 1-line block ×3, first 2 shown]
	v_add_f32_e32 v22, v19, v21
	v_add_f32_e32 v7, v15, v7
	;; [unrolled: 1-line block ×3, first 2 shown]
	v_fmac_f32_e32 v5, -0.5, v22
	v_add_f32_e32 v7, v11, v7
	v_add_f32_e32 v4, v23, v4
	v_mov_b32_e32 v22, v5
	v_add_f32_e32 v7, v9, v7
	v_add_f32_e32 v4, v17, v4
	v_fmac_f32_e32 v22, 0x3f737871, v16
	v_sub_f32_e32 v21, v23, v21
	v_sub_f32_e32 v17, v17, v19
	v_fmac_f32_e32 v5, 0xbf737871, v16
	v_add_f32_e32 v7, v13, v7
	v_mul_f32_e32 v13, 0x3e9e377a, v42
	v_fmac_f32_e32 v22, 0xbf167918, v18
	v_add_f32_e32 v17, v17, v21
	v_fmac_f32_e32 v5, 0x3f167918, v18
	v_mul_f32_e32 v9, 0xbf167918, v44
	v_mul_f32_e32 v11, 0xbf737871, v41
	v_fma_f32 v13, v6, s5, -v13
	v_mul_f32_e32 v6, 0x3f4f1bbd, v8
	v_add_f32_e32 v4, v19, v4
	v_fmac_f32_e32 v22, 0x3e9e377a, v17
	v_fmac_f32_e32 v5, 0x3e9e377a, v17
	;; [unrolled: 1-line block ×4, first 2 shown]
	v_fma_f32 v19, v39, s4, -v6
	v_add_f32_e32 v15, v7, v4
	v_add_f32_e32 v16, v20, v9
	;; [unrolled: 1-line block ×5, first 2 shown]
	v_sub_f32_e32 v7, v4, v7
	v_sub_f32_e32 v8, v20, v9
	v_sub_f32_e32 v9, v22, v11
	v_sub_f32_e32 v4, v5, v13
	v_sub_f32_e32 v5, v49, v19
	s_waitcnt lgkmcnt(0)
	s_barrier
	ds_write2_b64 v10, v[15:16], v[17:18] offset1:1
	ds_write2_b64 v10, v[6:7], v[8:9] offset0:2 offset1:3
	ds_write_b64 v10, v[4:5] offset:32
	s_waitcnt lgkmcnt(0)
	s_barrier
	ds_read2_b32 v[10:11], v46 offset0:28 offset1:190
	ds_read2_b32 v[8:9], v47 offset0:32 offset1:248
	ds_read2_b32 v[6:7], v48 offset0:90 offset1:252
	ds_read_b32 v16, v34
	ds_read_b32 v15, v35
	;; [unrolled: 1-line block ×3, first 2 shown]
                                        ; implicit-def: $vgpr4
                                        ; implicit-def: $vgpr18
	s_and_saveexec_b64 s[2:3], s[0:1]
	s_cbranch_execz .LBB0_17
; %bb.16:
	ds_read_b32 v18, v34 offset:4104
	ds_read_b32 v5, v37
	ds_read_b32 v4, v34 offset:6264
.LBB0_17:
	s_or_b64 exec, exec, s[2:3]
	s_movk_i32 s2, 0xcd
	v_mul_lo_u16_sdwa v17, v30, s2 dst_sel:DWORD dst_unused:UNUSED_PAD src0_sel:BYTE_0 src1_sel:DWORD
	v_lshrrev_b16_e32 v45, 11, v17
	v_mul_lo_u16_e32 v17, 10, v45
	v_sub_u16_e32 v46, v30, v17
	v_mov_b32_e32 v17, 4
	v_lshlrev_b32_sdwa v17, v17, v46 dst_sel:DWORD dst_unused:UNUSED_PAD src0_sel:DWORD src1_sel:BYTE_0
	global_load_dwordx4 v[20:23], v17, s[8:9]
	s_mov_b32 s2, 0xcccd
	s_waitcnt vmcnt(0) lgkmcnt(5)
	v_mul_f32_e32 v17, v10, v21
	v_mul_f32_e32 v19, v28, v21
	;; [unrolled: 1-line block ×3, first 2 shown]
	v_fmac_f32_e32 v19, v10, v20
	s_waitcnt lgkmcnt(4)
	v_mul_f32_e32 v10, v9, v23
	v_fmac_f32_e32 v21, v9, v22
	v_mul_u32_u24_sdwa v9, v32, s2 dst_sel:DWORD dst_unused:UNUSED_PAD src0_sel:WORD_0 src1_sel:DWORD
	v_fma_f32 v17, v28, v20, -v17
	v_fma_f32 v20, v27, v22, -v10
	v_lshrrev_b32_e32 v10, 19, v9
	v_mul_lo_u16_e32 v9, 10, v10
	v_sub_u16_e32 v47, v32, v9
	v_lshlrev_b32_e32 v9, 4, v47
	global_load_dwordx4 v[41:44], v9, s[8:9]
	s_waitcnt vmcnt(0)
	v_mul_f32_e32 v9, v11, v42
	v_fma_f32 v22, v29, v41, -v9
	s_waitcnt lgkmcnt(3)
	v_mul_f32_e32 v9, v6, v44
	v_fma_f32 v27, v24, v43, -v9
	v_mul_f32_e32 v24, v24, v44
	v_mul_f32_e32 v23, v29, v42
	v_fmac_f32_e32 v24, v6, v43
	v_mul_u32_u24_sdwa v6, v33, s2 dst_sel:DWORD dst_unused:UNUSED_PAD src0_sel:WORD_0 src1_sel:DWORD
	v_fmac_f32_e32 v23, v11, v41
	v_lshrrev_b32_e32 v11, 19, v6
	v_mul_lo_u16_e32 v6, 10, v11
	v_sub_u16_e32 v48, v33, v6
	v_lshlrev_b32_e32 v6, 4, v48
	global_load_dwordx4 v[41:44], v6, s[8:9]
	s_waitcnt vmcnt(0)
	v_mul_f32_e32 v6, v8, v42
	v_fma_f32 v28, v26, v41, -v6
	v_mul_f32_e32 v6, v7, v44
	v_fma_f32 v29, v25, v43, -v6
	v_mul_f32_e32 v25, v25, v44
	v_mul_u32_u24_sdwa v6, v31, s2 dst_sel:DWORD dst_unused:UNUSED_PAD src0_sel:WORD_0 src1_sel:DWORD
	v_fmac_f32_e32 v25, v7, v43
	v_lshrrev_b32_e32 v43, 19, v6
	v_mul_lo_u16_e32 v6, 10, v43
	v_sub_u16_e32 v49, v31, v6
	v_mul_f32_e32 v26, v26, v42
	v_lshlrev_b32_e32 v6, 4, v49
	v_fmac_f32_e32 v26, v8, v41
	global_load_dwordx4 v[6:9], v6, s[8:9]
	s_waitcnt vmcnt(0) lgkmcnt(0)
	s_barrier
	v_mul_f32_e32 v39, v18, v7
	v_fma_f32 v39, v40, v6, -v39
	v_mul_f32_e32 v40, v40, v7
	v_fmac_f32_e32 v40, v18, v6
	v_mul_f32_e32 v6, v4, v9
	v_fma_f32 v41, v2, v8, -v6
	v_mul_f32_e32 v42, v2, v9
	v_add_f32_e32 v2, v38, v17
	v_fmac_f32_e32 v42, v4, v8
	v_add_f32_e32 v4, v2, v20
	v_add_f32_e32 v2, v17, v20
	v_fmac_f32_e32 v38, -0.5, v2
	v_sub_f32_e32 v2, v19, v21
	v_mov_b32_e32 v6, v38
	v_fmac_f32_e32 v6, 0x3f5db3d7, v2
	v_fmac_f32_e32 v38, 0xbf5db3d7, v2
	v_add_f32_e32 v2, v14, v22
	v_add_f32_e32 v7, v2, v27
	;; [unrolled: 1-line block ×3, first 2 shown]
	v_fmac_f32_e32 v14, -0.5, v2
	v_sub_f32_e32 v2, v23, v24
	v_mov_b32_e32 v8, v14
	v_fmac_f32_e32 v8, 0x3f5db3d7, v2
	v_fmac_f32_e32 v14, 0xbf5db3d7, v2
	v_add_f32_e32 v2, v12, v28
	v_add_f32_e32 v9, v2, v29
	;; [unrolled: 1-line block ×3, first 2 shown]
	v_fmac_f32_e32 v12, -0.5, v2
	v_sub_f32_e32 v2, v26, v25
	v_mov_b32_e32 v50, v12
	v_add_f32_e32 v18, v39, v41
	v_fmac_f32_e32 v50, 0x3f5db3d7, v2
	v_fmac_f32_e32 v12, 0xbf5db3d7, v2
	v_add_f32_e32 v2, v3, v39
	v_fmac_f32_e32 v3, -0.5, v18
	v_sub_f32_e32 v44, v40, v42
	v_mov_b32_e32 v18, v3
	v_fmac_f32_e32 v18, 0x3f5db3d7, v44
	v_fmac_f32_e32 v3, 0xbf5db3d7, v44
	v_mul_u32_u24_e32 v44, 0x78, v45
	v_mov_b32_e32 v45, 2
	v_lshlrev_b32_sdwa v45, v45, v46 dst_sel:DWORD dst_unused:UNUSED_PAD src0_sel:DWORD src1_sel:BYTE_0
	v_add3_u32 v44, 0, v44, v45
	ds_write2_b32 v44, v4, v6 offset1:10
	ds_write_b32 v44, v38 offset:80
	v_mul_u32_u24_e32 v4, 0x78, v10
	v_lshlrev_b32_e32 v6, 2, v47
	v_add3_u32 v45, 0, v4, v6
	v_mul_u32_u24_e32 v4, 0x78, v11
	v_lshlrev_b32_e32 v6, 2, v48
	v_add3_u32 v46, 0, v4, v6
	v_add_f32_e32 v2, v2, v41
	ds_write2_b32 v45, v7, v8 offset1:10
	ds_write_b32 v45, v14 offset:80
	ds_write2_b32 v46, v9, v50 offset1:10
	ds_write_b32 v46, v12 offset:80
	v_mul_lo_u16_e32 v12, 30, v43
	v_lshlrev_b32_e32 v14, 2, v49
	s_and_saveexec_b64 s[2:3], s[0:1]
	s_cbranch_execz .LBB0_19
; %bb.18:
	v_lshlrev_b32_e32 v4, 2, v12
	v_add3_u32 v4, 0, v14, v4
	ds_write2_b32 v4, v2, v18 offset1:10
	ds_write_b32 v4, v3 offset:80
.LBB0_19:
	s_or_b64 exec, exec, s[2:3]
	v_add_u32_e32 v4, 0x800, v34
	s_waitcnt lgkmcnt(0)
	s_barrier
	ds_read2_b32 v[10:11], v4 offset0:28 offset1:190
	v_add_u32_e32 v4, 0xd00, v34
	ds_read2_b32 v[6:7], v4 offset0:32 offset1:248
	v_add_u32_e32 v4, 0x1200, v34
	ds_read2_b32 v[8:9], v4 offset0:90 offset1:252
	ds_read_b32 v43, v34
	ds_read_b32 v38, v35
	ds_read_b32 v4, v36
	s_and_saveexec_b64 s[2:3], s[0:1]
	s_cbranch_execz .LBB0_21
; %bb.20:
	ds_read_b32 v18, v34 offset:4104
	ds_read_b32 v2, v37
	ds_read_b32 v3, v34 offset:6264
.LBB0_21:
	s_or_b64 exec, exec, s[2:3]
	v_add_f32_e32 v47, v16, v19
	v_add_f32_e32 v19, v19, v21
	v_fmac_f32_e32 v16, -0.5, v19
	v_sub_f32_e32 v17, v17, v20
	v_mov_b32_e32 v20, v16
	v_add_f32_e32 v19, v23, v24
	v_fmac_f32_e32 v20, 0xbf5db3d7, v17
	v_fmac_f32_e32 v16, 0x3f5db3d7, v17
	v_add_f32_e32 v17, v15, v23
	v_fmac_f32_e32 v15, -0.5, v19
	v_add_f32_e32 v47, v47, v21
	v_sub_f32_e32 v19, v22, v27
	v_mov_b32_e32 v21, v15
	v_fmac_f32_e32 v21, 0xbf5db3d7, v19
	v_fmac_f32_e32 v15, 0x3f5db3d7, v19
	v_add_f32_e32 v19, v13, v26
	v_add_f32_e32 v22, v19, v25
	v_add_f32_e32 v19, v26, v25
	v_fmac_f32_e32 v13, -0.5, v19
	v_add_f32_e32 v17, v17, v24
	v_sub_f32_e32 v19, v28, v29
	v_mov_b32_e32 v23, v13
	v_add_f32_e32 v24, v40, v42
	v_fmac_f32_e32 v23, 0xbf5db3d7, v19
	v_fmac_f32_e32 v13, 0x3f5db3d7, v19
	v_add_f32_e32 v19, v5, v40
	v_fmac_f32_e32 v5, -0.5, v24
	v_sub_f32_e32 v25, v39, v41
	v_mov_b32_e32 v24, v5
	v_add_f32_e32 v19, v19, v42
	v_fmac_f32_e32 v24, 0xbf5db3d7, v25
	v_fmac_f32_e32 v5, 0x3f5db3d7, v25
	s_waitcnt lgkmcnt(0)
	s_barrier
	ds_write2_b32 v44, v47, v20 offset1:10
	ds_write_b32 v44, v16 offset:80
	ds_write2_b32 v45, v17, v21 offset1:10
	ds_write_b32 v45, v15 offset:80
	ds_write2_b32 v46, v22, v23 offset1:10
	ds_write_b32 v46, v13 offset:80
	s_and_saveexec_b64 s[2:3], s[0:1]
	s_cbranch_execz .LBB0_23
; %bb.22:
	v_lshlrev_b32_e32 v12, 2, v12
	v_add3_u32 v12, 0, v14, v12
	ds_write2_b32 v12, v19, v24 offset1:10
	ds_write_b32 v12, v5 offset:80
.LBB0_23:
	s_or_b64 exec, exec, s[2:3]
	v_add_u32_e32 v12, 0x800, v34
	s_waitcnt lgkmcnt(0)
	s_barrier
	ds_read2_b32 v[16:17], v12 offset0:28 offset1:190
	v_add_u32_e32 v12, 0xd00, v34
	v_add_u32_e32 v14, 0x1200, v34
	ds_read2_b32 v[12:13], v12 offset0:32 offset1:248
	ds_read2_b32 v[14:15], v14 offset0:90 offset1:252
	ds_read_b32 v22, v34
	ds_read_b32 v21, v35
	;; [unrolled: 1-line block ×3, first 2 shown]
	s_and_saveexec_b64 s[2:3], s[0:1]
	s_cbranch_execz .LBB0_25
; %bb.24:
	ds_read_b32 v24, v34 offset:4104
	ds_read_b32 v19, v37
	ds_read_b32 v5, v34 offset:6264
.LBB0_25:
	s_or_b64 exec, exec, s[2:3]
	s_movk_i32 s2, 0x89
	v_mul_lo_u16_sdwa v23, v30, s2 dst_sel:DWORD dst_unused:UNUSED_PAD src0_sel:BYTE_0 src1_sel:DWORD
	s_mov_b32 s2, 0x8889
	v_lshrrev_b16_e32 v58, 12, v23
	v_mul_u32_u24_sdwa v25, v32, s2 dst_sel:DWORD dst_unused:UNUSED_PAD src0_sel:WORD_0 src1_sel:DWORD
	v_mul_lo_u16_e32 v23, 30, v58
	v_lshrrev_b32_e32 v60, 20, v25
	v_sub_u16_e32 v59, v30, v23
	v_mov_b32_e32 v23, 4
	v_mul_lo_u16_e32 v25, 30, v60
	v_lshlrev_b32_sdwa v23, v23, v59 dst_sel:DWORD dst_unused:UNUSED_PAD src0_sel:DWORD src1_sel:BYTE_0
	v_sub_u16_e32 v61, v32, v25
	global_load_dwordx4 v[26:29], v23, s[8:9] offset:160
	v_lshlrev_b32_e32 v23, 4, v61
	global_load_dwordx4 v[46:49], v23, s[8:9] offset:160
	v_mul_u32_u24_sdwa v23, v33, s2 dst_sel:DWORD dst_unused:UNUSED_PAD src0_sel:WORD_0 src1_sel:DWORD
	v_lshrrev_b32_e32 v62, 20, v23
	v_mul_lo_u16_e32 v23, 30, v62
	v_sub_u16_e32 v63, v33, v23
	v_lshlrev_b32_e32 v23, 4, v63
	global_load_dwordx4 v[50:53], v23, s[8:9] offset:160
	v_mul_u32_u24_sdwa v23, v31, s2 dst_sel:DWORD dst_unused:UNUSED_PAD src0_sel:WORD_0 src1_sel:DWORD
	v_lshrrev_b32_e32 v23, 20, v23
	v_mul_lo_u16_e32 v25, 30, v23
	v_sub_u16_e32 v64, v31, v25
	v_lshlrev_b32_e32 v25, 4, v64
	global_load_dwordx4 v[54:57], v25, s[8:9] offset:160
	s_waitcnt vmcnt(0) lgkmcnt(0)
	s_barrier
	v_mul_f32_e32 v41, v16, v27
	v_mul_f32_e32 v39, v10, v27
	;; [unrolled: 1-line block ×7, first 2 shown]
	v_fma_f32 v44, v10, v26, -v41
	v_mul_f32_e32 v25, v6, v51
	v_fma_f32 v45, v7, v28, -v42
	v_fma_f32 v42, v11, v46, -v65
	v_fmac_f32_e32 v27, v17, v46
	v_fma_f32 v46, v8, v48, -v47
	v_mul_f32_e32 v29, v8, v49
	v_mul_f32_e32 v10, v24, v55
	;; [unrolled: 1-line block ×3, first 2 shown]
	v_fmac_f32_e32 v39, v16, v26
	v_fmac_f32_e32 v40, v13, v28
	v_mul_f32_e32 v7, v15, v53
	v_mul_f32_e32 v28, v9, v53
	;; [unrolled: 1-line block ×4, first 2 shown]
	v_fmac_f32_e32 v25, v12, v50
	v_fma_f32 v12, v18, v54, -v10
	v_add_f32_e32 v8, v42, v46
	v_fmac_f32_e32 v29, v14, v48
	v_fma_f32 v17, v6, v50, -v49
	v_fma_f32 v41, v9, v52, -v7
	v_fmac_f32_e32 v28, v15, v52
	v_fma_f32 v15, v3, v56, -v11
	v_fmac_f32_e32 v26, v5, v56
	v_add_f32_e32 v5, v44, v45
	v_add_f32_e32 v7, v38, v42
	;; [unrolled: 1-line block ×3, first 2 shown]
	v_fmac_f32_e32 v38, -0.5, v8
	v_add_f32_e32 v3, v43, v44
	v_sub_f32_e32 v10, v27, v29
	v_add_f32_e32 v11, v17, v41
	v_fmac_f32_e32 v43, -0.5, v5
	v_add_f32_e32 v5, v7, v46
	v_add_f32_e32 v7, v16, v15
	v_mov_b32_e32 v16, v38
	v_sub_f32_e32 v6, v39, v40
	v_add_f32_e32 v9, v4, v17
	v_fmac_f32_e32 v4, -0.5, v11
	v_mov_b32_e32 v11, v43
	v_fmac_f32_e32 v38, 0xbf5db3d7, v10
	v_fmac_f32_e32 v16, 0x3f5db3d7, v10
	v_mov_b32_e32 v10, 2
	v_fmac_f32_e32 v43, 0xbf5db3d7, v6
	v_fmac_f32_e32 v11, 0x3f5db3d7, v6
	v_mul_u32_u24_e32 v6, 0x168, v58
	v_lshlrev_b32_sdwa v10, v10, v59 dst_sel:DWORD dst_unused:UNUSED_PAD src0_sel:DWORD src1_sel:BYTE_0
	v_mul_f32_e32 v13, v18, v55
	v_add_f32_e32 v18, v12, v15
	v_add_f32_e32 v48, v3, v45
	v_add3_u32 v47, 0, v6, v10
	v_mul_u32_u24_e32 v6, 0x168, v60
	v_lshlrev_b32_e32 v10, 2, v61
	v_fmac_f32_e32 v13, v24, v54
	v_fmac_f32_e32 v2, -0.5, v18
	ds_write2_b32 v47, v48, v11 offset1:30
	ds_write_b32 v47, v43 offset:240
	v_add3_u32 v48, 0, v6, v10
	v_sub_f32_e32 v14, v25, v28
	v_sub_f32_e32 v24, v13, v26
	v_add_f32_e32 v3, v9, v41
	v_mov_b32_e32 v9, v4
	v_mov_b32_e32 v8, v2
	ds_write2_b32 v48, v5, v16 offset1:30
	ds_write_b32 v48, v38 offset:240
	v_mul_u32_u24_e32 v5, 0x168, v62
	v_lshlrev_b32_e32 v6, 2, v63
	v_fmac_f32_e32 v4, 0xbf5db3d7, v14
	v_fmac_f32_e32 v2, 0xbf5db3d7, v24
	v_fmac_f32_e32 v9, 0x3f5db3d7, v14
	v_fmac_f32_e32 v8, 0x3f5db3d7, v24
	v_add3_u32 v49, 0, v5, v6
	v_lshlrev_b32_e32 v38, 2, v64
	ds_write2_b32 v49, v3, v9 offset1:30
	ds_write_b32 v49, v4 offset:240
	s_and_saveexec_b64 s[2:3], s[0:1]
	s_cbranch_execz .LBB0_27
; %bb.26:
	v_mul_lo_u16_e32 v5, 0x5a, v23
	v_lshlrev_b32_e32 v5, 2, v5
	v_add3_u32 v5, 0, v38, v5
	ds_write2_b32 v5, v7, v8 offset1:30
	ds_write_b32 v5, v2 offset:240
.LBB0_27:
	s_or_b64 exec, exec, s[2:3]
	s_waitcnt lgkmcnt(0)
	s_barrier
	ds_read_b32 v6, v34
	ds_read_b32 v16, v34 offset:1080
	ds_read_b32 v18, v34 offset:2160
	;; [unrolled: 1-line block ×5, first 2 shown]
	s_movk_i32 s2, 0x6c
	v_cmp_gt_u32_e64 s[2:3], s2, v30
	s_and_saveexec_b64 s[4:5], s[2:3]
	s_cbranch_execz .LBB0_29
; %bb.28:
	ds_read_b32 v9, v34 offset:1728
	ds_read_b32 v4, v34 offset:2808
	;; [unrolled: 1-line block ×4, first 2 shown]
	ds_read_b32 v3, v35
	ds_read_b32 v2, v34 offset:6048
.LBB0_29:
	s_or_b64 exec, exec, s[4:5]
	v_add_f32_e32 v5, v22, v39
	v_add_f32_e32 v50, v5, v40
	;; [unrolled: 1-line block ×3, first 2 shown]
	v_fmac_f32_e32 v22, -0.5, v5
	v_sub_f32_e32 v5, v44, v45
	v_mov_b32_e32 v39, v22
	v_fmac_f32_e32 v39, 0xbf5db3d7, v5
	v_fmac_f32_e32 v22, 0x3f5db3d7, v5
	v_add_f32_e32 v5, v21, v27
	v_add_f32_e32 v40, v5, v29
	;; [unrolled: 1-line block ×3, first 2 shown]
	v_fmac_f32_e32 v21, -0.5, v5
	v_sub_f32_e32 v5, v42, v46
	v_mov_b32_e32 v27, v21
	v_add_f32_e32 v24, v25, v28
	v_fmac_f32_e32 v27, 0xbf5db3d7, v5
	v_fmac_f32_e32 v21, 0x3f5db3d7, v5
	v_add_f32_e32 v5, v20, v25
	v_fmac_f32_e32 v20, -0.5, v24
	v_sub_f32_e32 v17, v17, v41
	v_mov_b32_e32 v24, v20
	v_fmac_f32_e32 v24, 0xbf5db3d7, v17
	v_fmac_f32_e32 v20, 0x3f5db3d7, v17
	v_add_f32_e32 v17, v19, v13
	v_add_f32_e32 v13, v13, v26
	v_fmac_f32_e32 v19, -0.5, v13
	v_sub_f32_e32 v12, v12, v15
	v_mov_b32_e32 v43, v19
	v_add_f32_e32 v5, v5, v28
	v_add_f32_e32 v42, v17, v26
	v_fmac_f32_e32 v43, 0xbf5db3d7, v12
	v_fmac_f32_e32 v19, 0x3f5db3d7, v12
	s_waitcnt lgkmcnt(0)
	s_barrier
	ds_write2_b32 v47, v50, v39 offset1:30
	ds_write_b32 v47, v22 offset:240
	ds_write2_b32 v48, v40, v27 offset1:30
	ds_write_b32 v48, v21 offset:240
	;; [unrolled: 2-line block ×3, first 2 shown]
	s_and_saveexec_b64 s[4:5], s[0:1]
	s_cbranch_execz .LBB0_31
; %bb.30:
	v_mul_lo_u16_e32 v12, 0x5a, v23
	v_lshlrev_b32_e32 v12, 2, v12
	v_add3_u32 v12, 0, v38, v12
	ds_write2_b32 v12, v42, v43 offset1:30
	ds_write_b32 v12, v19 offset:240
.LBB0_31:
	s_or_b64 exec, exec, s[4:5]
	s_waitcnt lgkmcnt(0)
	s_barrier
	ds_read_b32 v12, v34
	ds_read_b32 v28, v34 offset:1080
	ds_read_b32 v27, v34 offset:2160
	;; [unrolled: 1-line block ×5, first 2 shown]
	s_and_saveexec_b64 s[4:5], s[2:3]
	s_cbranch_execz .LBB0_33
; %bb.32:
	ds_read_b32 v24, v34 offset:1728
	ds_read_b32 v20, v34 offset:2808
	;; [unrolled: 1-line block ×4, first 2 shown]
	ds_read_b32 v5, v35
	ds_read_b32 v19, v34 offset:6048
.LBB0_33:
	s_or_b64 exec, exec, s[4:5]
	s_movk_i32 s4, 0x5a
	v_add_u32_e32 v13, 0xffffffa6, v30
	v_cmp_gt_u32_e64 s[4:5], s4, v30
	v_cndmask_b32_e64 v60, v13, v30, s[4:5]
	v_mul_i32_i24_e32 v38, 5, v60
	v_mov_b32_e32 v39, 0
	v_lshlrev_b64 v[38:39], 3, v[38:39]
	v_mov_b32_e32 v13, s9
	v_add_co_u32_e64 v48, s[4:5], s8, v38
	v_addc_co_u32_e64 v49, s[4:5], v13, v39, s[4:5]
	s_movk_i32 s4, 0x2d83
	v_mul_u32_u24_sdwa v13, v32, s4 dst_sel:DWORD dst_unused:UNUSED_PAD src0_sel:WORD_0 src1_sel:DWORD
	v_lshrrev_b32_e32 v13, 20, v13
	v_mul_lo_u16_e32 v15, 0x5a, v13
	v_sub_u16_e32 v61, v32, v15
	global_load_dwordx4 v[38:41], v[48:49], off offset:640
	global_load_dwordx4 v[44:47], v[48:49], off offset:656
	global_load_dwordx2 v[56:57], v[48:49], off offset:672
	v_mul_u32_u24_e32 v15, 5, v61
	v_lshlrev_b32_e32 v15, 3, v15
	global_load_dwordx4 v[48:51], v15, s[8:9] offset:640
	global_load_dwordx4 v[52:55], v15, s[8:9] offset:656
	global_load_dwordx2 v[58:59], v15, s[8:9] offset:672
	s_movk_i32 s4, 0x59
	v_cmp_lt_u32_e64 s[4:5], s4, v30
	s_waitcnt vmcnt(0) lgkmcnt(0)
	s_barrier
	v_mul_f32_e32 v62, v28, v39
	v_mul_f32_e32 v15, v16, v39
	;; [unrolled: 1-line block ×10, first 2 shown]
	v_fma_f32 v16, v16, v38, -v62
	v_fmac_f32_e32 v15, v28, v38
	v_fma_f32 v38, v18, v40, -v39
	v_fma_f32 v18, v14, v44, -v41
	v_fma_f32 v10, v10, v56, -v47
	v_fmac_f32_e32 v21, v22, v56
	v_mul_f32_e32 v22, v20, v51
	v_fmac_f32_e32 v26, v27, v40
	v_fmac_f32_e32 v17, v25, v44
	v_fma_f32 v40, v11, v46, -v45
	v_fmac_f32_e32 v29, v23, v46
	v_mul_f32_e32 v11, v24, v49
	v_mul_f32_e32 v14, v9, v49
	;; [unrolled: 1-line block ×6, first 2 shown]
	v_fma_f32 v4, v4, v50, -v22
	v_add_f32_e32 v22, v18, v10
	v_mul_f32_e32 v25, v7, v53
	v_mul_f32_e32 v41, v8, v55
	;; [unrolled: 1-line block ×3, first 2 shown]
	v_fma_f32 v28, v9, v48, -v11
	v_fmac_f32_e32 v14, v24, v48
	v_fmac_f32_e32 v27, v20, v50
	v_fma_f32 v9, v7, v52, -v23
	v_fma_f32 v20, v8, v54, -v44
	v_fmac_f32_e32 v39, v19, v58
	v_add_f32_e32 v7, v6, v38
	v_add_f32_e32 v8, v38, v40
	;; [unrolled: 1-line block ×3, first 2 shown]
	v_sub_f32_e32 v23, v17, v21
	v_add_f32_e32 v24, v17, v21
	v_fmac_f32_e32 v16, -0.5, v22
	v_fmac_f32_e32 v25, v42, v52
	v_fmac_f32_e32 v41, v43, v54
	v_sub_f32_e32 v18, v18, v10
	v_add_f32_e32 v7, v7, v40
	v_fmac_f32_e32 v6, -0.5, v8
	v_add_f32_e32 v8, v19, v10
	v_fma_f32 v42, -0.5, v24, v15
	v_mov_b32_e32 v43, v16
	v_fmac_f32_e32 v16, 0xbf5db3d7, v23
	v_sub_f32_e32 v11, v26, v29
	v_mov_b32_e32 v44, v42
	v_fmac_f32_e32 v42, 0x3f5db3d7, v18
	v_add_f32_e32 v22, v7, v8
	v_sub_f32_e32 v24, v7, v8
	v_mul_f32_e32 v7, -0.5, v16
	v_mov_b32_e32 v10, v6
	v_fmac_f32_e32 v6, 0xbf5db3d7, v11
	v_fmac_f32_e32 v44, 0xbf5db3d7, v18
	;; [unrolled: 1-line block ×5, first 2 shown]
	v_mul_f32_e32 v8, 0x3f5db3d7, v44
	v_add_f32_e32 v11, v6, v7
	v_sub_f32_e32 v50, v6, v7
	v_add_f32_e32 v7, v4, v20
	v_fma_f32 v2, v2, v58, -v45
	v_fmac_f32_e32 v8, 0.5, v43
	v_add_f32_e32 v6, v3, v4
	v_fmac_f32_e32 v3, -0.5, v7
	v_add_f32_e32 v23, v10, v8
	v_sub_f32_e32 v48, v10, v8
	v_sub_f32_e32 v8, v27, v41
	v_mov_b32_e32 v7, v3
	v_add_f32_e32 v10, v9, v2
	v_fmac_f32_e32 v7, 0x3f5db3d7, v8
	v_fmac_f32_e32 v3, 0xbf5db3d7, v8
	v_add_f32_e32 v8, v28, v9
	v_fmac_f32_e32 v28, -0.5, v10
	v_sub_f32_e32 v10, v25, v39
	v_mov_b32_e32 v45, v28
	v_fmac_f32_e32 v45, 0x3f5db3d7, v10
	v_fmac_f32_e32 v28, 0xbf5db3d7, v10
	v_add_f32_e32 v10, v25, v39
	v_fma_f32 v46, -0.5, v10, v14
	v_mov_b32_e32 v49, 0x870
	v_add_f32_e32 v8, v8, v2
	v_sub_f32_e32 v2, v9, v2
	v_mov_b32_e32 v47, v46
	v_cndmask_b32_e64 v49, 0, v49, s[4:5]
	v_lshlrev_b32_e32 v51, 2, v60
	v_fmac_f32_e32 v47, 0xbf5db3d7, v2
	v_add3_u32 v49, 0, v49, v51
	v_fmac_f32_e32 v46, 0x3f5db3d7, v2
	v_mul_f32_e32 v9, 0x3f5db3d7, v47
	v_mul_f32_e32 v10, -0.5, v28
	ds_write2_b32 v49, v22, v23 offset1:90
	v_add_u32_e32 v22, 0x200, v49
	v_add_f32_e32 v6, v6, v20
	v_fmac_f32_e32 v9, 0.5, v45
	v_fmac_f32_e32 v10, 0x3f5db3d7, v46
	ds_write2_b32 v22, v11, v24 offset0:52 offset1:142
	v_add_u32_e32 v11, 0x400, v49
	v_sub_f32_e32 v2, v6, v8
	v_sub_f32_e32 v18, v7, v9
	;; [unrolled: 1-line block ×3, first 2 shown]
	ds_write2_b32 v11, v48, v50 offset0:104 offset1:194
	v_lshlrev_b32_e32 v48, 2, v61
	s_and_saveexec_b64 s[4:5], s[2:3]
	s_cbranch_execz .LBB0_35
; %bb.34:
	v_add_f32_e32 v6, v6, v8
	v_mul_lo_u16_e32 v8, 0x21c, v13
	v_lshlrev_b32_e32 v8, 2, v8
	v_add_f32_e32 v7, v7, v9
	v_add3_u32 v8, 0, v48, v8
	v_add_f32_e32 v3, v3, v10
	ds_write2_b32 v8, v6, v7 offset1:90
	v_add_u32_e32 v6, 0x200, v8
	ds_write2_b32 v6, v3, v2 offset0:52 offset1:142
	v_add_u32_e32 v3, 0x400, v8
	ds_write2_b32 v3, v18, v19 offset0:104 offset1:194
.LBB0_35:
	s_or_b64 exec, exec, s[4:5]
	v_add_u32_e32 v3, 0x800, v34
	s_waitcnt lgkmcnt(0)
	s_barrier
	ds_read2_b32 v[8:9], v3 offset0:28 offset1:190
	v_add_u32_e32 v3, 0xd00, v34
	ds_read2_b32 v[6:7], v3 offset0:32 offset1:248
	v_add_u32_e32 v3, 0x1200, v34
	ds_read2_b32 v[10:11], v3 offset0:90 offset1:252
	ds_read_b32 v22, v34
	ds_read_b32 v23, v35
	;; [unrolled: 1-line block ×3, first 2 shown]
	s_and_saveexec_b64 s[4:5], s[0:1]
	s_cbranch_execz .LBB0_37
; %bb.36:
	ds_read_b32 v18, v34 offset:4104
	ds_read_b32 v2, v37
	ds_read_b32 v19, v34 offset:6264
.LBB0_37:
	s_or_b64 exec, exec, s[4:5]
	v_add_f32_e32 v3, v12, v26
	v_add_f32_e32 v26, v26, v29
	;; [unrolled: 1-line block ×4, first 2 shown]
	v_fmac_f32_e32 v12, -0.5, v26
	v_sub_f32_e32 v26, v38, v40
	v_add_f32_e32 v15, v15, v21
	v_mul_f32_e32 v38, -0.5, v42
	v_mov_b32_e32 v29, v12
	v_fmac_f32_e32 v12, 0x3f5db3d7, v26
	v_add_f32_e32 v17, v3, v15
	v_fmac_f32_e32 v38, 0xbf5db3d7, v16
	v_sub_f32_e32 v42, v3, v15
	v_add_f32_e32 v3, v5, v27
	v_add_f32_e32 v40, v12, v38
	v_sub_f32_e32 v38, v12, v38
	v_add_f32_e32 v12, v3, v41
	v_add_f32_e32 v3, v27, v41
	v_mul_f32_e32 v21, 0xbf5db3d7, v43
	v_fmac_f32_e32 v5, -0.5, v3
	v_fmac_f32_e32 v29, 0xbf5db3d7, v26
	v_fmac_f32_e32 v21, 0.5, v44
	v_sub_f32_e32 v3, v4, v20
	v_mov_b32_e32 v4, v5
	v_add_f32_e32 v26, v29, v21
	v_fmac_f32_e32 v4, 0xbf5db3d7, v3
	v_fmac_f32_e32 v5, 0x3f5db3d7, v3
	v_add_f32_e32 v3, v14, v25
	v_mul_f32_e32 v15, 0xbf5db3d7, v45
	v_mul_f32_e32 v16, -0.5, v46
	v_add_f32_e32 v14, v3, v39
	v_fmac_f32_e32 v15, 0.5, v47
	v_fmac_f32_e32 v16, 0xbf5db3d7, v28
	s_waitcnt lgkmcnt(0)
	s_barrier
	ds_write2_b32 v49, v17, v26 offset1:90
	v_add_u32_e32 v17, 0x200, v49
	v_sub_f32_e32 v29, v29, v21
	v_sub_f32_e32 v3, v12, v14
	;; [unrolled: 1-line block ×4, first 2 shown]
	ds_write2_b32 v17, v40, v42 offset0:52 offset1:142
	v_add_u32_e32 v17, 0x400, v49
	ds_write2_b32 v17, v29, v38 offset0:104 offset1:194
	s_and_saveexec_b64 s[4:5], s[2:3]
	s_cbranch_execz .LBB0_39
; %bb.38:
	v_mul_lo_u16_e32 v13, 0x21c, v13
	v_lshlrev_b32_e32 v13, 2, v13
	v_add_f32_e32 v12, v12, v14
	v_add_f32_e32 v4, v4, v15
	v_add3_u32 v13, 0, v48, v13
	v_add_f32_e32 v5, v5, v16
	ds_write2_b32 v13, v12, v4 offset1:90
	v_add_u32_e32 v4, 0x200, v13
	ds_write2_b32 v4, v5, v3 offset0:52 offset1:142
	v_add_u32_e32 v4, 0x400, v13
	ds_write2_b32 v4, v20, v21 offset0:104 offset1:194
.LBB0_39:
	s_or_b64 exec, exec, s[4:5]
	v_add_u32_e32 v4, 0x800, v34
	s_waitcnt lgkmcnt(0)
	s_barrier
	ds_read2_b32 v[14:15], v4 offset0:28 offset1:190
	v_add_u32_e32 v4, 0xd00, v34
	ds_read2_b32 v[12:13], v4 offset0:32 offset1:248
	v_add_u32_e32 v4, 0x1200, v34
	ds_read2_b32 v[16:17], v4 offset0:90 offset1:252
	ds_read_b32 v25, v34
	ds_read_b32 v26, v35
	;; [unrolled: 1-line block ×3, first 2 shown]
	s_and_saveexec_b64 s[2:3], s[0:1]
	s_cbranch_execz .LBB0_41
; %bb.40:
	ds_read_b32 v20, v34 offset:4104
	ds_read_b32 v3, v37
	ds_read_b32 v21, v34 offset:6264
.LBB0_41:
	s_or_b64 exec, exec, s[2:3]
	s_and_saveexec_b64 s[2:3], vcc
	s_cbranch_execz .LBB0_44
; %bb.42:
	v_lshlrev_b32_e32 v4, 1, v33
	v_mov_b32_e32 v5, 0
	v_lshlrev_b64 v[28:29], 3, v[4:5]
	v_mov_b32_e32 v41, s9
	v_add_co_u32_e32 v4, vcc, s8, v28
	v_addc_co_u32_e32 v29, vcc, v41, v29, vcc
	v_add_co_u32_e32 v28, vcc, 0x1000, v4
	v_addc_co_u32_e32 v29, vcc, 0, v29, vcc
	v_lshlrev_b32_e32 v4, 1, v32
	global_load_dwordx4 v[33:36], v[28:29], off offset:144
	v_lshlrev_b64 v[28:29], 3, v[4:5]
	s_movk_i32 s2, 0x1000
	v_add_co_u32_e32 v4, vcc, s8, v28
	v_addc_co_u32_e32 v29, vcc, v41, v29, vcc
	v_add_co_u32_e32 v28, vcc, s2, v4
	v_addc_co_u32_e32 v29, vcc, 0, v29, vcc
	v_lshlrev_b32_e32 v4, 1, v30
	global_load_dwordx4 v[37:40], v[28:29], off offset:144
	v_lshlrev_b64 v[28:29], 3, v[4:5]
	s_movk_i32 s4, 0x438
	v_add_co_u32_e32 v4, vcc, s8, v28
	v_addc_co_u32_e32 v29, vcc, v41, v29, vcc
	v_add_co_u32_e32 v28, vcc, s2, v4
	v_addc_co_u32_e32 v29, vcc, 0, v29, vcc
	global_load_dwordx4 v[41:44], v[28:29], off offset:144
	v_add_co_u32_e32 v0, vcc, s14, v0
	s_waitcnt vmcnt(2) lgkmcnt(4)
	v_mul_f32_e32 v4, v12, v34
	v_mul_f32_e32 v29, v6, v34
	s_waitcnt lgkmcnt(3)
	v_mul_f32_e32 v28, v17, v36
	v_mul_f32_e32 v32, v11, v36
	v_fmac_f32_e32 v29, v12, v33
	v_fma_f32 v4, v6, v33, -v4
	v_fma_f32 v6, v11, v35, -v28
	v_fmac_f32_e32 v32, v17, v35
	v_sub_f32_e32 v33, v4, v6
	v_add_f32_e32 v17, v4, v6
	v_add_f32_e32 v4, v24, v4
	s_waitcnt vmcnt(1)
	v_mul_f32_e32 v34, v15, v38
	v_mul_f32_e32 v36, v16, v40
	;; [unrolled: 1-line block ×4, first 2 shown]
	v_fma_f32 v9, v9, v37, -v34
	v_fma_f32 v12, v10, v39, -v36
	v_fmac_f32_e32 v40, v16, v39
	s_waitcnt lgkmcnt(0)
	v_add_f32_e32 v16, v27, v29
	v_add_f32_e32 v39, v23, v9
	v_fmac_f32_e32 v38, v15, v37
	v_add_f32_e32 v15, v29, v32
	s_waitcnt vmcnt(0)
	v_mul_f32_e32 v11, v13, v44
	v_mul_f32_e32 v28, v8, v42
	v_sub_f32_e32 v34, v9, v12
	v_add_f32_e32 v37, v9, v12
	v_fma_f32 v45, v7, v43, -v11
	v_add_f32_e32 v11, v16, v32
	v_add_f32_e32 v16, v39, v12
	v_mul_f32_e32 v12, v7, v44
	v_mul_f32_e32 v10, v14, v42
	v_fmac_f32_e32 v28, v14, v41
	v_fma_f32 v9, -0.5, v15, v27
	v_fmac_f32_e32 v12, v13, v43
	v_fma_f32 v42, v8, v41, -v10
	v_fma_f32 v8, -0.5, v17, v24
	v_add_f32_e32 v10, v4, v6
	v_mov_b32_e32 v24, v9
	v_add_f32_e32 v6, v28, v12
	v_sub_f32_e32 v29, v29, v32
	v_fmac_f32_e32 v9, 0xbf5db3d7, v33
	v_fmac_f32_e32 v24, 0x3f5db3d7, v33
	v_fma_f32 v7, -0.5, v6, v25
	v_mad_u64_u32 v[32:33], s[2:3], s12, v30, 0
	v_sub_f32_e32 v4, v42, v45
	v_mov_b32_e32 v13, v7
	v_add_f32_e32 v35, v38, v40
	v_fma_f32 v14, -0.5, v37, v23
	v_mov_b32_e32 v23, v8
	v_fmac_f32_e32 v13, 0x3f5db3d7, v4
	v_fmac_f32_e32 v7, 0xbf5db3d7, v4
	v_add_f32_e32 v4, v25, v28
	v_fma_f32 v15, -0.5, v35, v26
	v_fmac_f32_e32 v8, 0x3f5db3d7, v29
	v_fmac_f32_e32 v23, 0xbf5db3d7, v29
	v_add_f32_e32 v29, v4, v12
	v_add_f32_e32 v4, v42, v45
	v_mov_b32_e32 v27, v15
	v_fma_f32 v6, -0.5, v4, v22
	v_mov_b32_e32 v4, v33
	v_fmac_f32_e32 v15, 0xbf5db3d7, v34
	v_fmac_f32_e32 v27, 0x3f5db3d7, v34
	v_mad_u64_u32 v[33:34], s[2:3], s13, v30, v[4:5]
	v_add_f32_e32 v4, v22, v42
	v_add_u32_e32 v22, 0x21c, v30
	v_mad_u64_u32 v[34:35], s[2:3], s12, v22, 0
	v_sub_f32_e32 v25, v28, v12
	v_add_f32_e32 v28, v4, v45
	v_mov_b32_e32 v4, s15
	v_add_f32_e32 v36, v26, v38
	v_addc_co_u32_e32 v1, vcc, v4, v1, vcc
	v_mov_b32_e32 v4, v35
	v_add_f32_e32 v17, v36, v40
	v_lshlrev_b64 v[32:33], 3, v[32:33]
	v_mad_u64_u32 v[35:36], s[2:3], s13, v22, v[4:5]
	v_add_u32_e32 v22, 0x438, v30
	v_add_co_u32_e32 v32, vcc, v0, v32
	v_mad_u64_u32 v[36:37], s[2:3], s12, v22, 0
	v_addc_co_u32_e32 v33, vcc, v1, v33, vcc
	global_store_dwordx2 v[32:33], v[28:29], off
	v_lshlrev_b64 v[28:29], 3, v[34:35]
	v_mov_b32_e32 v4, v37
	v_add_co_u32_e32 v28, vcc, v0, v28
	v_mov_b32_e32 v12, v6
	v_fmac_f32_e32 v6, 0x3f5db3d7, v25
	v_mad_u64_u32 v[32:33], s[2:3], s13, v22, v[4:5]
	v_addc_co_u32_e32 v29, vcc, v1, v29, vcc
	v_add_u32_e32 v22, 0xa2, v30
	global_store_dwordx2 v[28:29], v[6:7], off
	v_mad_u64_u32 v[28:29], s[2:3], s12, v22, 0
	v_mov_b32_e32 v37, v32
	v_lshlrev_b64 v[6:7], 3, v[36:37]
	v_mov_b32_e32 v4, v29
	v_mad_u64_u32 v[32:33], s[2:3], s13, v22, v[4:5]
	v_add_u32_e32 v22, 0x2be, v30
	v_mad_u64_u32 v[33:34], s[2:3], s12, v22, 0
	v_add_co_u32_e32 v6, vcc, v0, v6
	v_fmac_f32_e32 v12, 0xbf5db3d7, v25
	v_addc_co_u32_e32 v7, vcc, v1, v7, vcc
	v_mov_b32_e32 v29, v32
	global_store_dwordx2 v[6:7], v[12:13], off
	v_lshlrev_b64 v[6:7], 3, v[28:29]
	v_mov_b32_e32 v4, v34
	v_mad_u64_u32 v[12:13], s[2:3], s13, v22, v[4:5]
	v_add_co_u32_e32 v6, vcc, v0, v6
	v_addc_co_u32_e32 v7, vcc, v1, v7, vcc
	global_store_dwordx2 v[6:7], v[16:17], off
	v_add_u32_e32 v16, 0x4da, v30
	v_mov_b32_e32 v34, v12
	v_mad_u64_u32 v[12:13], s[2:3], s12, v16, 0
	v_add_u32_e32 v22, 0x144, v30
	s_mov_b32 s2, 0xf2b9d649
	v_mul_hi_u32 v25, v22, s2
	v_mov_b32_e32 v4, v13
	v_mad_u64_u32 v[16:17], s[2:3], s13, v16, v[4:5]
	v_lshrrev_b32_e32 v4, 9, v25
	v_mad_u32_u24 v17, v4, s4, v22
	v_mad_u64_u32 v[28:29], s[2:3], s12, v17, 0
	v_lshlrev_b64 v[6:7], 3, v[33:34]
	v_sub_f32_e32 v38, v38, v40
	v_add_co_u32_e32 v6, vcc, v0, v6
	v_mov_b32_e32 v26, v14
	v_fmac_f32_e32 v14, 0x3f5db3d7, v38
	v_addc_co_u32_e32 v7, vcc, v1, v7, vcc
	v_mov_b32_e32 v13, v16
	v_mov_b32_e32 v4, v29
	global_store_dwordx2 v[6:7], v[14:15], off
	v_lshlrev_b64 v[6:7], 3, v[12:13]
	v_mad_u64_u32 v[12:13], s[2:3], s13, v17, v[4:5]
	v_add_u32_e32 v14, 0x21c, v17
	v_add_co_u32_e32 v6, vcc, v0, v6
	v_mov_b32_e32 v29, v12
	v_mad_u64_u32 v[12:13], s[2:3], s12, v14, 0
	v_add_u32_e32 v16, 0x438, v17
	v_fmac_f32_e32 v26, 0xbf5db3d7, v38
	v_mov_b32_e32 v4, v13
	v_mad_u64_u32 v[13:14], s[2:3], s13, v14, v[4:5]
	v_addc_co_u32_e32 v7, vcc, v1, v7, vcc
	v_mad_u64_u32 v[14:15], s[2:3], s12, v16, 0
	global_store_dwordx2 v[6:7], v[26:27], off
	v_lshlrev_b64 v[6:7], 3, v[28:29]
	v_mov_b32_e32 v4, v15
	v_add_co_u32_e32 v6, vcc, v0, v6
	v_addc_co_u32_e32 v7, vcc, v1, v7, vcc
	global_store_dwordx2 v[6:7], v[10:11], off
	v_mad_u64_u32 v[10:11], s[2:3], s13, v16, v[4:5]
	v_lshlrev_b64 v[6:7], 3, v[12:13]
	v_add_co_u32_e32 v6, vcc, v0, v6
	v_addc_co_u32_e32 v7, vcc, v1, v7, vcc
	v_mov_b32_e32 v15, v10
	global_store_dwordx2 v[6:7], v[8:9], off
	v_lshlrev_b64 v[6:7], 3, v[14:15]
	v_add_co_u32_e32 v6, vcc, v0, v6
	v_addc_co_u32_e32 v7, vcc, v1, v7, vcc
	global_store_dwordx2 v[6:7], v[23:24], off
	s_and_b64 exec, exec, s[0:1]
	s_cbranch_execz .LBB0_44
; %bb.43:
	v_subrev_u32_e32 v4, 54, v30
	v_cndmask_b32_e64 v4, v4, v31, s[0:1]
	v_lshlrev_b32_e32 v4, 1, v4
	v_lshlrev_b64 v[4:5], 3, v[4:5]
	v_mov_b32_e32 v6, s9
	v_add_co_u32_e32 v4, vcc, s8, v4
	v_addc_co_u32_e32 v5, vcc, v6, v5, vcc
	v_add_co_u32_e32 v4, vcc, 0x1000, v4
	v_addc_co_u32_e32 v5, vcc, 0, v5, vcc
	global_load_dwordx4 v[4:7], v[4:5], off offset:144
	v_add_u32_e32 v14, 0x1e6, v30
	v_add_u32_e32 v16, 0x402, v30
	v_mad_u64_u32 v[8:9], s[0:1], s12, v14, 0
	v_mad_u64_u32 v[10:11], s[0:1], s12, v16, 0
	v_add_u32_e32 v17, 0x61e, v30
	v_mad_u64_u32 v[12:13], s[0:1], s12, v17, 0
	v_mad_u64_u32 v[14:15], s[0:1], s13, v14, v[9:10]
	;; [unrolled: 1-line block ×4, first 2 shown]
	v_mov_b32_e32 v9, v14
	v_lshlrev_b64 v[8:9], 3, v[8:9]
	v_mov_b32_e32 v11, v15
	v_lshlrev_b64 v[10:11], 3, v[10:11]
	v_add_co_u32_e32 v8, vcc, v0, v8
	v_mov_b32_e32 v13, v16
	v_addc_co_u32_e32 v9, vcc, v1, v9, vcc
	v_lshlrev_b64 v[12:13], 3, v[12:13]
	v_add_co_u32_e32 v10, vcc, v0, v10
	v_addc_co_u32_e32 v11, vcc, v1, v11, vcc
	v_add_co_u32_e32 v0, vcc, v0, v12
	v_addc_co_u32_e32 v1, vcc, v1, v13, vcc
	s_waitcnt vmcnt(0)
	v_mul_f32_e32 v12, v20, v5
	v_mul_f32_e32 v5, v18, v5
	;; [unrolled: 1-line block ×4, first 2 shown]
	v_fma_f32 v12, v18, v4, -v12
	v_fmac_f32_e32 v5, v20, v4
	v_fma_f32 v4, v19, v6, -v13
	v_fmac_f32_e32 v7, v21, v6
	v_add_f32_e32 v13, v12, v4
	v_add_f32_e32 v16, v5, v7
	;; [unrolled: 1-line block ×4, first 2 shown]
	v_fmac_f32_e32 v2, -0.5, v13
	v_fmac_f32_e32 v3, -0.5, v16
	v_sub_f32_e32 v14, v5, v7
	v_sub_f32_e32 v12, v12, v4
	v_add_f32_e32 v4, v6, v4
	v_add_f32_e32 v5, v15, v7
	v_mov_b32_e32 v6, v2
	v_mov_b32_e32 v7, v3
	v_fmac_f32_e32 v6, 0x3f5db3d7, v14
	v_fmac_f32_e32 v7, 0xbf5db3d7, v12
	;; [unrolled: 1-line block ×4, first 2 shown]
	global_store_dwordx2 v[8:9], v[4:5], off
	global_store_dwordx2 v[10:11], v[6:7], off
	;; [unrolled: 1-line block ×3, first 2 shown]
.LBB0_44:
	s_endpgm
	.section	.rodata,"a",@progbits
	.p2align	6, 0x0
	.amdhsa_kernel fft_rtc_fwd_len1620_factors_10_3_3_6_3_wgs_162_tpt_162_halfLds_sp_ip_CI_sbrr_dirReg
		.amdhsa_group_segment_fixed_size 0
		.amdhsa_private_segment_fixed_size 0
		.amdhsa_kernarg_size 88
		.amdhsa_user_sgpr_count 6
		.amdhsa_user_sgpr_private_segment_buffer 1
		.amdhsa_user_sgpr_dispatch_ptr 0
		.amdhsa_user_sgpr_queue_ptr 0
		.amdhsa_user_sgpr_kernarg_segment_ptr 1
		.amdhsa_user_sgpr_dispatch_id 0
		.amdhsa_user_sgpr_flat_scratch_init 0
		.amdhsa_user_sgpr_private_segment_size 0
		.amdhsa_uses_dynamic_stack 0
		.amdhsa_system_sgpr_private_segment_wavefront_offset 0
		.amdhsa_system_sgpr_workgroup_id_x 1
		.amdhsa_system_sgpr_workgroup_id_y 0
		.amdhsa_system_sgpr_workgroup_id_z 0
		.amdhsa_system_sgpr_workgroup_info 0
		.amdhsa_system_vgpr_workitem_id 0
		.amdhsa_next_free_vgpr 66
		.amdhsa_next_free_sgpr 24
		.amdhsa_reserve_vcc 1
		.amdhsa_reserve_flat_scratch 0
		.amdhsa_float_round_mode_32 0
		.amdhsa_float_round_mode_16_64 0
		.amdhsa_float_denorm_mode_32 3
		.amdhsa_float_denorm_mode_16_64 3
		.amdhsa_dx10_clamp 1
		.amdhsa_ieee_mode 1
		.amdhsa_fp16_overflow 0
		.amdhsa_exception_fp_ieee_invalid_op 0
		.amdhsa_exception_fp_denorm_src 0
		.amdhsa_exception_fp_ieee_div_zero 0
		.amdhsa_exception_fp_ieee_overflow 0
		.amdhsa_exception_fp_ieee_underflow 0
		.amdhsa_exception_fp_ieee_inexact 0
		.amdhsa_exception_int_div_zero 0
	.end_amdhsa_kernel
	.text
.Lfunc_end0:
	.size	fft_rtc_fwd_len1620_factors_10_3_3_6_3_wgs_162_tpt_162_halfLds_sp_ip_CI_sbrr_dirReg, .Lfunc_end0-fft_rtc_fwd_len1620_factors_10_3_3_6_3_wgs_162_tpt_162_halfLds_sp_ip_CI_sbrr_dirReg
                                        ; -- End function
	.section	.AMDGPU.csdata,"",@progbits
; Kernel info:
; codeLenInByte = 8156
; NumSgprs: 28
; NumVgprs: 66
; ScratchSize: 0
; MemoryBound: 0
; FloatMode: 240
; IeeeMode: 1
; LDSByteSize: 0 bytes/workgroup (compile time only)
; SGPRBlocks: 3
; VGPRBlocks: 16
; NumSGPRsForWavesPerEU: 28
; NumVGPRsForWavesPerEU: 66
; Occupancy: 3
; WaveLimiterHint : 1
; COMPUTE_PGM_RSRC2:SCRATCH_EN: 0
; COMPUTE_PGM_RSRC2:USER_SGPR: 6
; COMPUTE_PGM_RSRC2:TRAP_HANDLER: 0
; COMPUTE_PGM_RSRC2:TGID_X_EN: 1
; COMPUTE_PGM_RSRC2:TGID_Y_EN: 0
; COMPUTE_PGM_RSRC2:TGID_Z_EN: 0
; COMPUTE_PGM_RSRC2:TIDIG_COMP_CNT: 0
	.type	__hip_cuid_7d1e093d0a6983b5,@object ; @__hip_cuid_7d1e093d0a6983b5
	.section	.bss,"aw",@nobits
	.globl	__hip_cuid_7d1e093d0a6983b5
__hip_cuid_7d1e093d0a6983b5:
	.byte	0                               ; 0x0
	.size	__hip_cuid_7d1e093d0a6983b5, 1

	.ident	"AMD clang version 19.0.0git (https://github.com/RadeonOpenCompute/llvm-project roc-6.4.0 25133 c7fe45cf4b819c5991fe208aaa96edf142730f1d)"
	.section	".note.GNU-stack","",@progbits
	.addrsig
	.addrsig_sym __hip_cuid_7d1e093d0a6983b5
	.amdgpu_metadata
---
amdhsa.kernels:
  - .args:
      - .actual_access:  read_only
        .address_space:  global
        .offset:         0
        .size:           8
        .value_kind:     global_buffer
      - .offset:         8
        .size:           8
        .value_kind:     by_value
      - .actual_access:  read_only
        .address_space:  global
        .offset:         16
        .size:           8
        .value_kind:     global_buffer
      - .actual_access:  read_only
        .address_space:  global
        .offset:         24
        .size:           8
        .value_kind:     global_buffer
      - .offset:         32
        .size:           8
        .value_kind:     by_value
      - .actual_access:  read_only
        .address_space:  global
        .offset:         40
        .size:           8
        .value_kind:     global_buffer
      - .actual_access:  read_only
        .address_space:  global
        .offset:         48
        .size:           8
        .value_kind:     global_buffer
      - .offset:         56
        .size:           4
        .value_kind:     by_value
      - .actual_access:  read_only
        .address_space:  global
        .offset:         64
        .size:           8
        .value_kind:     global_buffer
      - .actual_access:  read_only
        .address_space:  global
        .offset:         72
        .size:           8
        .value_kind:     global_buffer
      - .address_space:  global
        .offset:         80
        .size:           8
        .value_kind:     global_buffer
    .group_segment_fixed_size: 0
    .kernarg_segment_align: 8
    .kernarg_segment_size: 88
    .language:       OpenCL C
    .language_version:
      - 2
      - 0
    .max_flat_workgroup_size: 162
    .name:           fft_rtc_fwd_len1620_factors_10_3_3_6_3_wgs_162_tpt_162_halfLds_sp_ip_CI_sbrr_dirReg
    .private_segment_fixed_size: 0
    .sgpr_count:     28
    .sgpr_spill_count: 0
    .symbol:         fft_rtc_fwd_len1620_factors_10_3_3_6_3_wgs_162_tpt_162_halfLds_sp_ip_CI_sbrr_dirReg.kd
    .uniform_work_group_size: 1
    .uses_dynamic_stack: false
    .vgpr_count:     66
    .vgpr_spill_count: 0
    .wavefront_size: 64
amdhsa.target:   amdgcn-amd-amdhsa--gfx906
amdhsa.version:
  - 1
  - 2
...

	.end_amdgpu_metadata
